;; amdgpu-corpus repo=ROCm/rocFFT kind=compiled arch=gfx906 opt=O3
	.text
	.amdgcn_target "amdgcn-amd-amdhsa--gfx906"
	.amdhsa_code_object_version 6
	.protected	fft_rtc_fwd_len242_factors_11_2_11_wgs_110_tpt_22_dp_ip_CI_unitstride_sbrr_R2C_dirReg ; -- Begin function fft_rtc_fwd_len242_factors_11_2_11_wgs_110_tpt_22_dp_ip_CI_unitstride_sbrr_R2C_dirReg
	.globl	fft_rtc_fwd_len242_factors_11_2_11_wgs_110_tpt_22_dp_ip_CI_unitstride_sbrr_R2C_dirReg
	.p2align	8
	.type	fft_rtc_fwd_len242_factors_11_2_11_wgs_110_tpt_22_dp_ip_CI_unitstride_sbrr_R2C_dirReg,@function
fft_rtc_fwd_len242_factors_11_2_11_wgs_110_tpt_22_dp_ip_CI_unitstride_sbrr_R2C_dirReg: ; @fft_rtc_fwd_len242_factors_11_2_11_wgs_110_tpt_22_dp_ip_CI_unitstride_sbrr_R2C_dirReg
; %bb.0:
	s_load_dwordx2 s[12:13], s[4:5], 0x50
	s_load_dwordx4 s[8:11], s[4:5], 0x0
	s_load_dwordx2 s[2:3], s[4:5], 0x18
	v_mul_u32_u24_e32 v1, 0xba3, v0
	v_lshrrev_b32_e32 v1, 16, v1
	v_mad_u64_u32 v[1:2], s[0:1], s6, 5, v[1:2]
	v_mov_b32_e32 v5, 0
	s_waitcnt lgkmcnt(0)
	v_cmp_lt_u64_e64 s[0:1], s[10:11], 2
	v_mov_b32_e32 v2, v5
	v_mov_b32_e32 v3, 0
	;; [unrolled: 1-line block ×3, first 2 shown]
	s_and_b64 vcc, exec, s[0:1]
	v_mov_b32_e32 v4, 0
	v_mov_b32_e32 v9, v1
	s_cbranch_vccnz .LBB0_8
; %bb.1:
	s_load_dwordx2 s[0:1], s[4:5], 0x10
	s_add_u32 s6, s2, 8
	s_addc_u32 s7, s3, 0
	v_mov_b32_e32 v3, 0
	v_mov_b32_e32 v8, v2
	s_waitcnt lgkmcnt(0)
	s_add_u32 s16, s0, 8
	s_mov_b64 s[14:15], 1
	v_mov_b32_e32 v4, 0
	s_addc_u32 s17, s1, 0
	v_mov_b32_e32 v7, v1
.LBB0_2:                                ; =>This Inner Loop Header: Depth=1
	s_load_dwordx2 s[18:19], s[16:17], 0x0
                                        ; implicit-def: $vgpr9_vgpr10
	s_waitcnt lgkmcnt(0)
	v_or_b32_e32 v6, s19, v8
	v_cmp_ne_u64_e32 vcc, 0, v[5:6]
	s_and_saveexec_b64 s[0:1], vcc
	s_xor_b64 s[20:21], exec, s[0:1]
	s_cbranch_execz .LBB0_4
; %bb.3:                                ;   in Loop: Header=BB0_2 Depth=1
	v_cvt_f32_u32_e32 v2, s18
	v_cvt_f32_u32_e32 v6, s19
	s_sub_u32 s0, 0, s18
	s_subb_u32 s1, 0, s19
	v_mac_f32_e32 v2, 0x4f800000, v6
	v_rcp_f32_e32 v2, v2
	v_mul_f32_e32 v2, 0x5f7ffffc, v2
	v_mul_f32_e32 v6, 0x2f800000, v2
	v_trunc_f32_e32 v6, v6
	v_mac_f32_e32 v2, 0xcf800000, v6
	v_cvt_u32_f32_e32 v6, v6
	v_cvt_u32_f32_e32 v2, v2
	v_mul_lo_u32 v9, s0, v6
	v_mul_hi_u32 v10, s0, v2
	v_mul_lo_u32 v12, s1, v2
	v_mul_lo_u32 v11, s0, v2
	v_add_u32_e32 v9, v10, v9
	v_add_u32_e32 v9, v9, v12
	v_mul_hi_u32 v10, v2, v11
	v_mul_lo_u32 v12, v2, v9
	v_mul_hi_u32 v14, v2, v9
	v_mul_hi_u32 v13, v6, v11
	v_mul_lo_u32 v11, v6, v11
	v_mul_hi_u32 v15, v6, v9
	v_add_co_u32_e32 v10, vcc, v10, v12
	v_addc_co_u32_e32 v12, vcc, 0, v14, vcc
	v_mul_lo_u32 v9, v6, v9
	v_add_co_u32_e32 v10, vcc, v10, v11
	v_addc_co_u32_e32 v10, vcc, v12, v13, vcc
	v_addc_co_u32_e32 v11, vcc, 0, v15, vcc
	v_add_co_u32_e32 v9, vcc, v10, v9
	v_addc_co_u32_e32 v10, vcc, 0, v11, vcc
	v_add_co_u32_e32 v2, vcc, v2, v9
	v_addc_co_u32_e32 v6, vcc, v6, v10, vcc
	v_mul_lo_u32 v9, s0, v6
	v_mul_hi_u32 v10, s0, v2
	v_mul_lo_u32 v11, s1, v2
	v_mul_lo_u32 v12, s0, v2
	v_add_u32_e32 v9, v10, v9
	v_add_u32_e32 v9, v9, v11
	v_mul_lo_u32 v13, v2, v9
	v_mul_hi_u32 v14, v2, v12
	v_mul_hi_u32 v15, v2, v9
	;; [unrolled: 1-line block ×3, first 2 shown]
	v_mul_lo_u32 v12, v6, v12
	v_mul_hi_u32 v10, v6, v9
	v_add_co_u32_e32 v13, vcc, v14, v13
	v_addc_co_u32_e32 v14, vcc, 0, v15, vcc
	v_mul_lo_u32 v9, v6, v9
	v_add_co_u32_e32 v12, vcc, v13, v12
	v_addc_co_u32_e32 v11, vcc, v14, v11, vcc
	v_addc_co_u32_e32 v10, vcc, 0, v10, vcc
	v_add_co_u32_e32 v9, vcc, v11, v9
	v_addc_co_u32_e32 v10, vcc, 0, v10, vcc
	v_add_co_u32_e32 v2, vcc, v2, v9
	v_addc_co_u32_e32 v6, vcc, v6, v10, vcc
	v_mad_u64_u32 v[9:10], s[0:1], v7, v6, 0
	v_mul_hi_u32 v11, v7, v2
	v_add_co_u32_e32 v13, vcc, v11, v9
	v_addc_co_u32_e32 v14, vcc, 0, v10, vcc
	v_mad_u64_u32 v[9:10], s[0:1], v8, v2, 0
	v_mad_u64_u32 v[11:12], s[0:1], v8, v6, 0
	v_add_co_u32_e32 v2, vcc, v13, v9
	v_addc_co_u32_e32 v2, vcc, v14, v10, vcc
	v_addc_co_u32_e32 v6, vcc, 0, v12, vcc
	v_add_co_u32_e32 v2, vcc, v2, v11
	v_addc_co_u32_e32 v6, vcc, 0, v6, vcc
	v_mul_lo_u32 v11, s19, v2
	v_mul_lo_u32 v12, s18, v6
	v_mad_u64_u32 v[9:10], s[0:1], s18, v2, 0
	v_add3_u32 v10, v10, v12, v11
	v_sub_u32_e32 v11, v8, v10
	v_mov_b32_e32 v12, s19
	v_sub_co_u32_e32 v9, vcc, v7, v9
	v_subb_co_u32_e64 v11, s[0:1], v11, v12, vcc
	v_subrev_co_u32_e64 v12, s[0:1], s18, v9
	v_subbrev_co_u32_e64 v11, s[0:1], 0, v11, s[0:1]
	v_cmp_le_u32_e64 s[0:1], s19, v11
	v_cndmask_b32_e64 v13, 0, -1, s[0:1]
	v_cmp_le_u32_e64 s[0:1], s18, v12
	v_cndmask_b32_e64 v12, 0, -1, s[0:1]
	v_cmp_eq_u32_e64 s[0:1], s19, v11
	v_cndmask_b32_e64 v11, v13, v12, s[0:1]
	v_add_co_u32_e64 v12, s[0:1], 2, v2
	v_addc_co_u32_e64 v13, s[0:1], 0, v6, s[0:1]
	v_add_co_u32_e64 v14, s[0:1], 1, v2
	v_addc_co_u32_e64 v15, s[0:1], 0, v6, s[0:1]
	v_subb_co_u32_e32 v10, vcc, v8, v10, vcc
	v_cmp_ne_u32_e64 s[0:1], 0, v11
	v_cmp_le_u32_e32 vcc, s19, v10
	v_cndmask_b32_e64 v11, v15, v13, s[0:1]
	v_cndmask_b32_e64 v13, 0, -1, vcc
	v_cmp_le_u32_e32 vcc, s18, v9
	v_cndmask_b32_e64 v9, 0, -1, vcc
	v_cmp_eq_u32_e32 vcc, s19, v10
	v_cndmask_b32_e32 v9, v13, v9, vcc
	v_cmp_ne_u32_e32 vcc, 0, v9
	v_cndmask_b32_e32 v10, v6, v11, vcc
	v_cndmask_b32_e64 v6, v14, v12, s[0:1]
	v_cndmask_b32_e32 v9, v2, v6, vcc
.LBB0_4:                                ;   in Loop: Header=BB0_2 Depth=1
	s_andn2_saveexec_b64 s[0:1], s[20:21]
	s_cbranch_execz .LBB0_6
; %bb.5:                                ;   in Loop: Header=BB0_2 Depth=1
	v_cvt_f32_u32_e32 v2, s18
	s_sub_i32 s20, 0, s18
	v_rcp_iflag_f32_e32 v2, v2
	v_mul_f32_e32 v2, 0x4f7ffffe, v2
	v_cvt_u32_f32_e32 v2, v2
	v_mul_lo_u32 v6, s20, v2
	v_mul_hi_u32 v6, v2, v6
	v_add_u32_e32 v2, v2, v6
	v_mul_hi_u32 v2, v7, v2
	v_mul_lo_u32 v6, v2, s18
	v_add_u32_e32 v9, 1, v2
	v_sub_u32_e32 v6, v7, v6
	v_subrev_u32_e32 v10, s18, v6
	v_cmp_le_u32_e32 vcc, s18, v6
	v_cndmask_b32_e32 v6, v6, v10, vcc
	v_cndmask_b32_e32 v2, v2, v9, vcc
	v_add_u32_e32 v9, 1, v2
	v_cmp_le_u32_e32 vcc, s18, v6
	v_cndmask_b32_e32 v9, v2, v9, vcc
	v_mov_b32_e32 v10, v5
.LBB0_6:                                ;   in Loop: Header=BB0_2 Depth=1
	s_or_b64 exec, exec, s[0:1]
	v_mul_lo_u32 v2, v10, s18
	v_mul_lo_u32 v6, v9, s19
	v_mad_u64_u32 v[11:12], s[0:1], v9, s18, 0
	s_load_dwordx2 s[0:1], s[6:7], 0x0
	s_add_u32 s14, s14, 1
	v_add3_u32 v2, v12, v6, v2
	v_sub_co_u32_e32 v6, vcc, v7, v11
	v_subb_co_u32_e32 v2, vcc, v8, v2, vcc
	s_waitcnt lgkmcnt(0)
	v_mul_lo_u32 v2, s0, v2
	v_mul_lo_u32 v7, s1, v6
	v_mad_u64_u32 v[3:4], s[0:1], s0, v6, v[3:4]
	s_addc_u32 s15, s15, 0
	s_add_u32 s6, s6, 8
	v_add3_u32 v4, v7, v4, v2
	v_mov_b32_e32 v6, s10
	v_mov_b32_e32 v7, s11
	s_addc_u32 s7, s7, 0
	v_cmp_ge_u64_e32 vcc, s[14:15], v[6:7]
	s_add_u32 s16, s16, 8
	s_addc_u32 s17, s17, 0
	s_cbranch_vccnz .LBB0_8
; %bb.7:                                ;   in Loop: Header=BB0_2 Depth=1
	v_mov_b32_e32 v7, v9
	v_mov_b32_e32 v8, v10
	s_branch .LBB0_2
.LBB0_8:
	s_lshl_b64 s[0:1], s[10:11], 3
	s_add_u32 s0, s2, s0
	s_addc_u32 s1, s3, s1
	s_load_dwordx2 s[0:1], s[0:1], 0x0
	s_mov_b32 s2, 0xcccccccd
	v_mul_hi_u32 v5, v1, s2
	s_mov_b32 s2, 0xba2e8bb
                                        ; implicit-def: $vgpr56
                                        ; implicit-def: $vgpr55
                                        ; implicit-def: $vgpr54
	s_waitcnt lgkmcnt(0)
	v_mul_lo_u32 v6, s0, v10
	v_mul_lo_u32 v7, s1, v9
	v_mad_u64_u32 v[2:3], s[0:1], s0, v9, v[3:4]
	s_load_dwordx2 s[0:1], s[4:5], 0x20
	v_lshrrev_b32_e32 v4, 2, v5
	v_mul_hi_u32 v5, v0, s2
	v_lshl_add_u32 v4, v4, 2, v4
	v_sub_u32_e32 v1, v1, v4
	s_waitcnt lgkmcnt(0)
	v_cmp_gt_u64_e32 vcc, s[0:1], v[9:10]
	v_mul_u32_u24_e32 v4, 22, v5
	v_cmp_le_u64_e64 s[0:1], s[0:1], v[9:10]
	v_sub_u32_e32 v48, v0, v4
	v_add3_u32 v3, v7, v3, v6
	v_add_u32_e32 v52, 22, v48
	v_add_u32_e32 v57, 44, v48
	s_and_saveexec_b64 s[2:3], s[0:1]
	s_xor_b64 s[0:1], exec, s[2:3]
; %bb.9:
	v_add_u32_e32 v52, 22, v48
	v_add_u32_e32 v57, 44, v48
	;; [unrolled: 1-line block ×5, first 2 shown]
; %bb.10:
	s_or_saveexec_b64 s[2:3], s[0:1]
	v_mul_u32_u24_e32 v0, 0xf3, v1
	v_lshlrev_b64 v[50:51], 4, v[2:3]
	v_lshlrev_b32_e32 v58, 4, v0
	v_lshlrev_b32_e32 v53, 4, v48
	s_xor_b64 exec, exec, s[2:3]
	s_cbranch_execz .LBB0_12
; %bb.11:
	v_mov_b32_e32 v49, 0
	v_mov_b32_e32 v0, s13
	v_add_co_u32_e64 v2, s[0:1], s12, v50
	v_addc_co_u32_e64 v3, s[0:1], v0, v51, s[0:1]
	v_lshlrev_b64 v[0:1], 4, v[48:49]
	v_add_u32_e32 v56, 0x42, v48
	v_add_co_u32_e64 v44, s[0:1], v2, v0
	v_addc_co_u32_e64 v45, s[0:1], v3, v1, s[0:1]
	global_load_dwordx4 v[0:3], v[44:45], off
	global_load_dwordx4 v[4:7], v[44:45], off offset:352
	global_load_dwordx4 v[8:11], v[44:45], off offset:704
	;; [unrolled: 1-line block ×10, first 2 shown]
	v_add3_u32 v44, 0, v58, v53
	v_add_u32_e32 v55, 0x58, v48
	v_add_u32_e32 v54, 0x6e, v48
	s_waitcnt vmcnt(10)
	ds_write_b128 v44, v[0:3]
	s_waitcnt vmcnt(9)
	ds_write_b128 v44, v[4:7] offset:352
	s_waitcnt vmcnt(8)
	ds_write_b128 v44, v[8:11] offset:704
	;; [unrolled: 2-line block ×10, first 2 shown]
.LBB0_12:
	s_or_b64 exec, exec, s[2:3]
	v_add_u32_e32 v60, 0, v58
	v_add_u32_e32 v59, v60, v53
	s_waitcnt lgkmcnt(0)
	s_barrier
	v_add3_u32 v49, 0, v53, v58
	ds_read_b128 v[0:3], v59
	ds_read_b128 v[4:7], v49 offset:352
	ds_read_b128 v[8:11], v49 offset:704
	;; [unrolled: 1-line block ×3, first 2 shown]
	s_mov_b32 s20, 0xf8bb580b
	s_mov_b32 s2, 0x43842ef
	s_waitcnt lgkmcnt(2)
	v_add_f64 v[16:17], v[0:1], v[4:5]
	v_add_f64 v[18:19], v[2:3], v[6:7]
	s_mov_b32 s14, 0xbb3a28a1
	s_mov_b32 s22, 0xfd768dbf
	;; [unrolled: 1-line block ×6, first 2 shown]
	s_waitcnt lgkmcnt(1)
	v_add_f64 v[16:17], v[16:17], v[8:9]
	v_add_f64 v[18:19], v[18:19], v[10:11]
	s_mov_b32 s15, 0xbfe82f19
	s_mov_b32 s23, 0xbfd207e7
	ds_read_b128 v[20:23], v49 offset:1760
	s_mov_b32 s10, 0x8764f0ba
	s_mov_b32 s0, 0xd9c712b6
	;; [unrolled: 1-line block ×3, first 2 shown]
	s_waitcnt lgkmcnt(1)
	v_add_f64 v[24:25], v[16:17], v[12:13]
	v_add_f64 v[26:27], v[18:19], v[14:15]
	ds_read_b128 v[16:19], v49 offset:1408
	s_mov_b32 s18, 0x7f775887
	s_mov_b32 s16, 0x9bcd5057
	;; [unrolled: 1-line block ×5, first 2 shown]
	s_waitcnt lgkmcnt(0)
	v_add_f64 v[32:33], v[24:25], v[16:17]
	v_add_f64 v[34:35], v[26:27], v[18:19]
	ds_read_b128 v[24:27], v49 offset:2112
	ds_read_b128 v[28:31], v49 offset:2464
	s_mov_b32 s19, 0xbfe4f49e
	s_mov_b32 s17, 0xbfeeb42a
	;; [unrolled: 1-line block ×3, first 2 shown]
	s_waitcnt lgkmcnt(1)
	v_add_f64 v[61:62], v[20:21], v[24:25]
	v_add_f64 v[65:66], v[20:21], -v[24:25]
	v_add_f64 v[44:45], v[32:33], v[20:21]
	v_add_f64 v[46:47], v[34:35], v[22:23]
	s_waitcnt lgkmcnt(0)
	v_add_f64 v[67:68], v[18:19], v[30:31]
	v_add_f64 v[69:70], v[16:17], -v[28:29]
	v_add_f64 v[71:72], v[18:19], -v[30:31]
	ds_read_b128 v[32:35], v49 offset:2816
	ds_read_b128 v[36:39], v49 offset:3168
	;; [unrolled: 1-line block ×3, first 2 shown]
	v_add_f64 v[63:64], v[22:23], v[26:27]
	s_mov_b32 s28, s22
	v_add_f64 v[20:21], v[44:45], v[24:25]
	v_add_f64 v[24:25], v[46:47], v[26:27]
	v_add_f64 v[46:47], v[16:17], v[28:29]
	s_waitcnt lgkmcnt(2)
	v_add_f64 v[75:76], v[14:15], -v[34:35]
	v_add_f64 v[73:74], v[12:13], v[32:33]
	v_add_f64 v[44:45], v[22:23], -v[26:27]
	s_waitcnt lgkmcnt(1)
	v_add_f64 v[77:78], v[8:9], v[36:37]
	v_add_f64 v[79:80], v[10:11], v[38:39]
	;; [unrolled: 1-line block ×5, first 2 shown]
	v_add_f64 v[30:31], v[12:13], -v[32:33]
	s_waitcnt lgkmcnt(0)
	v_add_f64 v[12:13], v[6:7], -v[42:43]
	v_mul_f64 v[101:102], v[75:76], s[2:3]
	v_mul_f64 v[105:106], v[71:72], s[14:15]
	;; [unrolled: 1-line block ×3, first 2 shown]
	v_add_f64 v[14:15], v[16:17], v[32:33]
	v_add_f64 v[16:17], v[18:19], v[34:35]
	;; [unrolled: 1-line block ×3, first 2 shown]
	v_add_f64 v[32:33], v[8:9], -v[36:37]
	v_add_f64 v[34:35], v[10:11], -v[38:39]
	v_add_f64 v[8:9], v[4:5], v[40:41]
	v_mul_f64 v[10:11], v[12:13], s[20:21]
	v_mul_f64 v[20:21], v[12:13], s[4:5]
	v_add_f64 v[6:7], v[14:15], v[36:37]
	v_add_f64 v[14:15], v[16:17], v[38:39]
	v_add_f64 v[16:17], v[4:5], -v[40:41]
	v_mul_f64 v[22:23], v[12:13], s[2:3]
	v_mul_f64 v[24:25], v[12:13], s[14:15]
	;; [unrolled: 1-line block ×3, first 2 shown]
	v_fma_f64 v[26:27], v[8:9], s[10:11], -v[10:11]
	v_fma_f64 v[10:11], v[8:9], s[10:11], v[10:11]
	v_add_f64 v[4:5], v[6:7], v[40:41]
	v_fma_f64 v[36:37], v[8:9], s[0:1], -v[20:21]
	v_mul_f64 v[40:41], v[16:17], s[20:21]
	v_add_f64 v[6:7], v[14:15], v[42:43]
	v_fma_f64 v[14:15], v[8:9], s[0:1], v[20:21]
	v_fma_f64 v[20:21], v[8:9], s[6:7], -v[22:23]
	v_fma_f64 v[22:23], v[8:9], s[6:7], v[22:23]
	v_fma_f64 v[38:39], v[8:9], s[18:19], -v[24:25]
	v_fma_f64 v[24:25], v[8:9], s[18:19], v[24:25]
	v_mul_f64 v[42:43], v[16:17], s[4:5]
	v_fma_f64 v[81:82], v[8:9], s[16:17], -v[12:13]
	v_mul_f64 v[83:84], v[16:17], s[2:3]
	v_fma_f64 v[8:9], v[8:9], s[16:17], v[12:13]
	v_mul_f64 v[12:13], v[16:17], s[14:15]
	v_mul_f64 v[16:17], v[16:17], s[22:23]
	v_fma_f64 v[85:86], v[18:19], s[10:11], v[40:41]
	v_fma_f64 v[40:41], v[18:19], s[10:11], -v[40:41]
	v_fma_f64 v[87:88], v[18:19], s[0:1], v[42:43]
	v_fma_f64 v[42:43], v[18:19], s[0:1], -v[42:43]
	;; [unrolled: 2-line block ×5, first 2 shown]
	v_add_f64 v[18:19], v[0:1], v[26:27]
	v_add_f64 v[26:27], v[2:3], v[85:86]
	v_mul_f64 v[85:86], v[34:35], s[4:5]
	v_mul_f64 v[95:96], v[32:33], s[4:5]
	;; [unrolled: 1-line block ×3, first 2 shown]
	v_add_f64 v[10:11], v[0:1], v[10:11]
	v_add_f64 v[40:41], v[2:3], v[40:41]
	;; [unrolled: 1-line block ×4, first 2 shown]
	v_fma_f64 v[24:25], v[46:47], s[18:19], -v[105:106]
	v_fma_f64 v[97:98], v[77:78], s[0:1], -v[85:86]
	v_fma_f64 v[99:100], v[79:80], s[0:1], v[95:96]
	v_fma_f64 v[85:86], v[77:78], s[0:1], v[85:86]
	v_fma_f64 v[95:96], v[79:80], s[0:1], -v[95:96]
	v_add_f64 v[113:114], v[2:3], v[16:17]
	v_mul_f64 v[16:17], v[34:35], s[14:15]
	v_mul_f64 v[115:116], v[32:33], s[14:15]
	v_add_f64 v[36:37], v[0:1], v[36:37]
	v_add_f64 v[18:19], v[97:98], v[18:19]
	v_add_f64 v[26:27], v[99:100], v[26:27]
	v_fma_f64 v[97:98], v[73:74], s[6:7], -v[101:102]
	v_fma_f64 v[99:100], v[28:29], s[6:7], v[103:104]
	v_add_f64 v[85:86], v[85:86], v[10:11]
	v_add_f64 v[40:41], v[95:96], v[40:41]
	v_fma_f64 v[95:96], v[73:74], s[6:7], v[101:102]
	v_fma_f64 v[101:102], v[28:29], s[6:7], -v[103:104]
	v_add_f64 v[87:88], v[2:3], v[87:88]
	v_add_f64 v[14:15], v[0:1], v[14:15]
	;; [unrolled: 1-line block ×4, first 2 shown]
	v_fma_f64 v[26:27], v[67:68], s[18:19], v[107:108]
	v_mul_f64 v[97:98], v[44:45], s[22:23]
	v_mul_f64 v[99:100], v[65:66], s[22:23]
	v_add_f64 v[42:43], v[2:3], v[42:43]
	v_add_f64 v[20:21], v[0:1], v[20:21]
	;; [unrolled: 1-line block ×6, first 2 shown]
	v_fma_f64 v[24:25], v[61:62], s[16:17], -v[97:98]
	v_fma_f64 v[26:27], v[63:64], s[16:17], v[99:100]
	v_add_f64 v[83:84], v[2:3], v[83:84]
	v_add_f64 v[38:39], v[0:1], v[38:39]
	;; [unrolled: 1-line block ×10, first 2 shown]
	v_fma_f64 v[12:13], v[46:47], s[18:19], v[105:106]
	v_fma_f64 v[18:19], v[67:68], s[18:19], -v[107:108]
	v_fma_f64 v[24:25], v[77:78], s[18:19], -v[16:17]
	v_fma_f64 v[26:27], v[79:80], s[18:19], v[115:116]
	v_mul_f64 v[40:41], v[75:76], s[28:29]
	v_mul_f64 v[85:86], v[30:31], s[28:29]
	s_mov_b32 s27, 0x3fefac9e
	s_mov_b32 s26, s2
	v_add_f64 v[0:1], v[12:13], v[0:1]
	v_add_f64 v[2:3], v[18:19], v[2:3]
	v_fma_f64 v[12:13], v[61:62], s[16:17], v[97:98]
	v_fma_f64 v[18:19], v[63:64], s[16:17], -v[99:100]
	v_add_f64 v[24:25], v[24:25], v[36:37]
	v_add_f64 v[26:27], v[26:27], v[87:88]
	v_fma_f64 v[36:37], v[73:74], s[16:17], -v[40:41]
	v_fma_f64 v[87:88], v[28:29], s[16:17], v[85:86]
	v_mul_f64 v[95:96], v[71:72], s[26:27]
	v_mul_f64 v[97:98], v[69:70], s[26:27]
	v_add_f64 v[0:1], v[12:13], v[0:1]
	v_add_f64 v[2:3], v[18:19], v[2:3]
	v_fma_f64 v[16:17], v[77:78], s[18:19], v[16:17]
	s_mov_b32 s25, 0x3fe14ced
	v_add_f64 v[12:13], v[36:37], v[24:25]
	v_add_f64 v[18:19], v[87:88], v[26:27]
	v_fma_f64 v[24:25], v[79:80], s[18:19], -v[115:116]
	v_fma_f64 v[26:27], v[46:47], s[6:7], -v[95:96]
	v_fma_f64 v[36:37], v[67:68], s[6:7], v[97:98]
	s_mov_b32 s24, s20
	v_mul_f64 v[87:88], v[44:45], s[24:25]
	v_mul_f64 v[99:100], v[65:66], s[24:25]
	v_add_f64 v[14:15], v[16:17], v[14:15]
	s_mov_b32 s5, 0x3fed1bb4
	v_add_f64 v[16:17], v[24:25], v[42:43]
	v_fma_f64 v[24:25], v[73:74], s[16:17], v[40:41]
	v_fma_f64 v[40:41], v[28:29], s[16:17], -v[85:86]
	v_add_f64 v[12:13], v[26:27], v[12:13]
	v_add_f64 v[18:19], v[36:37], v[18:19]
	v_mul_f64 v[26:27], v[34:35], s[28:29]
	v_mul_f64 v[36:37], v[32:33], s[28:29]
	v_fma_f64 v[42:43], v[61:62], s[10:11], -v[87:88]
	v_fma_f64 v[85:86], v[63:64], s[10:11], v[99:100]
	v_add_f64 v[24:25], v[24:25], v[14:15]
	v_add_f64 v[16:17], v[40:41], v[16:17]
	v_fma_f64 v[40:41], v[46:47], s[6:7], v[95:96]
	v_fma_f64 v[95:96], v[67:68], s[6:7], -v[97:98]
	v_fma_f64 v[97:98], v[77:78], s[16:17], -v[26:27]
	v_fma_f64 v[101:102], v[79:80], s[16:17], v[36:37]
	v_mul_f64 v[105:106], v[75:76], s[4:5]
	v_mul_f64 v[107:108], v[30:31], s[4:5]
	v_add_f64 v[12:13], v[42:43], v[12:13]
	v_add_f64 v[14:15], v[85:86], v[18:19]
	;; [unrolled: 1-line block ×6, first 2 shown]
	v_fma_f64 v[40:41], v[73:74], s[0:1], -v[105:106]
	v_fma_f64 v[42:43], v[28:29], s[0:1], v[107:108]
	v_mul_f64 v[85:86], v[71:72], s[20:21]
	v_mul_f64 v[89:90], v[69:70], s[20:21]
	v_fma_f64 v[87:88], v[61:62], s[10:11], v[87:88]
	v_fma_f64 v[95:96], v[63:64], s[10:11], -v[99:100]
	v_fma_f64 v[26:27], v[77:78], s[16:17], v[26:27]
	v_fma_f64 v[36:37], v[79:80], s[16:17], -v[36:37]
	v_add_f64 v[40:41], v[40:41], v[16:17]
	v_add_f64 v[20:21], v[42:43], v[20:21]
	v_fma_f64 v[42:43], v[46:47], s[10:11], -v[85:86]
	v_fma_f64 v[97:98], v[67:68], s[10:11], v[89:90]
	v_add_f64 v[16:17], v[87:88], v[18:19]
	v_add_f64 v[18:19], v[95:96], v[24:25]
	;; [unrolled: 1-line block ×4, first 2 shown]
	v_fma_f64 v[26:27], v[73:74], s[0:1], v[105:106]
	v_fma_f64 v[36:37], v[28:29], s[0:1], -v[107:108]
	v_mul_f64 v[83:84], v[34:35], s[26:27]
	v_mul_f64 v[87:88], v[32:33], s[26:27]
	v_add_f64 v[40:41], v[42:43], v[40:41]
	v_add_f64 v[42:43], v[97:98], v[20:21]
	v_mul_f64 v[20:21], v[44:45], s[14:15]
	v_mul_f64 v[95:96], v[65:66], s[14:15]
	v_add_f64 v[22:23], v[26:27], v[22:23]
	v_add_f64 v[24:25], v[36:37], v[24:25]
	v_fma_f64 v[26:27], v[46:47], s[10:11], v[85:86]
	v_fma_f64 v[36:37], v[67:68], s[10:11], -v[89:90]
	v_fma_f64 v[85:86], v[77:78], s[6:7], -v[83:84]
	v_fma_f64 v[89:90], v[79:80], s[6:7], v[87:88]
	v_mul_f64 v[97:98], v[75:76], s[20:21]
	v_fma_f64 v[101:102], v[61:62], s[18:19], -v[20:21]
	v_fma_f64 v[105:106], v[63:64], s[18:19], v[95:96]
	v_fma_f64 v[115:116], v[61:62], s[18:19], v[20:21]
	v_add_f64 v[26:27], v[26:27], v[22:23]
	v_add_f64 v[36:37], v[36:37], v[24:25]
	v_add_f64 v[24:25], v[85:86], v[38:39]
	v_add_f64 v[38:39], v[89:90], v[91:92]
	v_fma_f64 v[85:86], v[73:74], s[10:11], -v[97:98]
	v_mul_f64 v[91:92], v[71:72], s[22:23]
	v_fma_f64 v[95:96], v[63:64], s[18:19], -v[95:96]
	v_add_f64 v[20:21], v[101:102], v[40:41]
	v_add_f64 v[22:23], v[105:106], v[42:43]
	v_mul_f64 v[34:35], v[34:35], s[24:25]
	v_mul_f64 v[32:33], v[32:33], s[24:25]
	;; [unrolled: 1-line block ×3, first 2 shown]
	v_add_f64 v[40:41], v[85:86], v[24:25]
	v_fma_f64 v[42:43], v[46:47], s[16:17], -v[91:92]
	v_add_f64 v[24:25], v[115:116], v[26:27]
	v_add_f64 v[26:27], v[95:96], v[36:37]
	v_mul_f64 v[99:100], v[30:31], s[20:21]
	v_fma_f64 v[95:96], v[77:78], s[10:11], -v[34:35]
	v_fma_f64 v[101:102], v[79:80], s[10:11], v[32:33]
	v_fma_f64 v[34:35], v[77:78], s[10:11], v[34:35]
	v_fma_f64 v[32:33], v[79:80], s[10:11], -v[32:33]
	v_add_f64 v[40:41], v[42:43], v[40:41]
	v_fma_f64 v[42:43], v[77:78], s[6:7], v[83:84]
	v_fma_f64 v[83:84], v[79:80], s[6:7], -v[87:88]
	v_mul_f64 v[30:31], v[30:31], s[14:15]
	v_add_f64 v[79:80], v[95:96], v[81:82]
	v_fma_f64 v[95:96], v[73:74], s[18:19], -v[75:76]
	v_fma_f64 v[89:90], v[28:29], s[10:11], v[99:100]
	v_mul_f64 v[107:108], v[69:70], s[22:23]
	v_add_f64 v[81:82], v[101:102], v[93:94]
	v_add_f64 v[42:43], v[42:43], v[109:110]
	;; [unrolled: 1-line block ×3, first 2 shown]
	v_fma_f64 v[83:84], v[73:74], s[10:11], v[97:98]
	v_fma_f64 v[93:94], v[28:29], s[10:11], -v[99:100]
	v_add_f64 v[34:35], v[34:35], v[103:104]
	v_add_f64 v[32:33], v[32:33], v[113:114]
	v_fma_f64 v[97:98], v[28:29], s[18:19], v[30:31]
	v_fma_f64 v[73:74], v[73:74], s[18:19], v[75:76]
	v_fma_f64 v[28:29], v[28:29], s[18:19], -v[30:31]
	v_mul_f64 v[71:72], v[71:72], s[4:5]
	v_add_f64 v[30:31], v[83:84], v[42:43]
	v_mul_f64 v[69:70], v[69:70], s[4:5]
	v_add_f64 v[75:76], v[95:96], v[79:80]
	v_fma_f64 v[79:80], v[46:47], s[16:17], v[91:92]
	v_add_f64 v[38:39], v[89:90], v[38:39]
	v_fma_f64 v[85:86], v[67:68], s[16:17], v[107:108]
	v_mul_f64 v[36:37], v[44:45], s[4:5]
	v_mul_f64 v[89:90], v[65:66], s[4:5]
	v_add_f64 v[42:43], v[93:94], v[77:78]
	v_add_f64 v[77:78], v[97:98], v[81:82]
	v_fma_f64 v[81:82], v[67:68], s[16:17], -v[107:108]
	v_add_f64 v[34:35], v[73:74], v[34:35]
	v_add_f64 v[28:29], v[28:29], v[32:33]
	v_fma_f64 v[32:33], v[46:47], s[0:1], -v[71:72]
	v_fma_f64 v[73:74], v[67:68], s[0:1], v[69:70]
	v_fma_f64 v[67:68], v[67:68], s[0:1], -v[69:70]
	v_add_f64 v[69:70], v[79:80], v[30:31]
	v_mul_f64 v[30:31], v[44:45], s[2:3]
	v_mul_f64 v[44:45], v[65:66], s[2:3]
	v_fma_f64 v[46:47], v[46:47], s[0:1], v[71:72]
	v_add_f64 v[38:39], v[85:86], v[38:39]
	v_fma_f64 v[85:86], v[61:62], s[0:1], -v[36:37]
	v_fma_f64 v[87:88], v[63:64], s[0:1], v[89:90]
	v_add_f64 v[65:66], v[32:33], v[75:76]
	v_add_f64 v[71:72], v[73:74], v[77:78]
	v_fma_f64 v[32:33], v[61:62], s[0:1], v[36:37]
	v_fma_f64 v[36:37], v[61:62], s[6:7], -v[30:31]
	v_fma_f64 v[73:74], v[63:64], s[6:7], v[44:45]
	v_add_f64 v[42:43], v[81:82], v[42:43]
	v_add_f64 v[46:47], v[46:47], v[34:35]
	;; [unrolled: 1-line block ×3, first 2 shown]
	v_fma_f64 v[34:35], v[63:64], s[0:1], -v[89:90]
	v_fma_f64 v[61:62], v[61:62], s[6:7], v[30:31]
	v_fma_f64 v[44:45], v[63:64], s[6:7], -v[44:45]
	v_add_f64 v[28:29], v[85:86], v[40:41]
	v_add_f64 v[30:31], v[87:88], v[38:39]
	;; [unrolled: 1-line block ×4, first 2 shown]
	s_movk_i32 s0, 0xa0
	v_add_f64 v[34:35], v[34:35], v[42:43]
	v_add_f64 v[40:41], v[61:62], v[46:47]
	;; [unrolled: 1-line block ×4, first 2 shown]
	v_mad_u32_u24 v44, v48, s0, v49
	s_barrier
	ds_write_b128 v44, v[4:7]
	ds_write_b128 v44, v[8:11] offset:16
	ds_write_b128 v44, v[12:15] offset:32
	;; [unrolled: 1-line block ×10, first 2 shown]
	s_waitcnt lgkmcnt(0)
	s_barrier
	v_lshl_add_u32 v64, v52, 4, v60
	v_lshl_add_u32 v63, v57, 4, v60
	;; [unrolled: 1-line block ×4, first 2 shown]
	ds_read_b128 v[24:27], v59
	ds_read_b128 v[28:31], v49 offset:1936
	ds_read_b128 v[16:19], v64
	ds_read_b128 v[8:11], v63
	ds_read_b128 v[40:43], v49 offset:2288
	ds_read_b128 v[32:35], v49 offset:2640
	ds_read_b128 v[20:23], v62
	ds_read_b128 v[12:15], v61
	ds_read_b128 v[44:47], v49 offset:2992
	ds_read_b128 v[36:39], v49 offset:3344
	v_cmp_gt_u32_e64 s[0:1], 11, v48
	v_lshlrev_b32_e32 v65, 4, v54
                                        ; implicit-def: $vgpr6_vgpr7
	s_and_saveexec_b64 s[2:3], s[0:1]
	s_cbranch_execz .LBB0_14
; %bb.13:
	v_add3_u32 v0, 0, v65, v58
	ds_read_b128 v[0:3], v0
	ds_read_b128 v[4:7], v49 offset:3696
.LBB0_14:
	s_or_b64 exec, exec, s[2:3]
	v_add_u32_e32 v66, -11, v48
	v_cndmask_b32_e64 v87, v66, v48, s[0:1]
	v_mov_b32_e32 v88, 0
	v_lshlrev_b64 v[66:67], 4, v[87:88]
	s_movk_i32 s4, 0x75
	v_mov_b32_e32 v68, s9
	v_add_co_u32_e64 v75, s[2:3], s8, v66
	v_mul_lo_u16_sdwa v66, v52, s4 dst_sel:DWORD dst_unused:UNUSED_PAD src0_sel:BYTE_0 src1_sel:DWORD
	v_addc_co_u32_e64 v76, s[2:3], v68, v67, s[2:3]
	v_sub_u16_sdwa v67, v52, v66 dst_sel:DWORD dst_unused:UNUSED_PAD src0_sel:DWORD src1_sel:BYTE_1
	v_lshrrev_b16_e32 v67, 1, v67
	v_and_b32_e32 v67, 0x7f, v67
	v_add_u16_sdwa v66, v67, v66 dst_sel:DWORD dst_unused:UNUSED_PAD src0_sel:DWORD src1_sel:BYTE_1
	v_lshrrev_b16_e32 v88, 3, v66
	v_mul_lo_u16_e32 v66, 11, v88
	v_sub_u16_e32 v67, v52, v66
	v_mov_b32_e32 v66, 4
	v_lshlrev_b32_sdwa v89, v66, v67 dst_sel:DWORD dst_unused:UNUSED_PAD src0_sel:DWORD src1_sel:BYTE_0
	global_load_dwordx4 v[67:70], v[75:76], off
	global_load_dwordx4 v[71:74], v89, s[8:9]
	v_mul_lo_u16_sdwa v75, v57, s4 dst_sel:DWORD dst_unused:UNUSED_PAD src0_sel:BYTE_0 src1_sel:DWORD
	v_sub_u16_sdwa v76, v57, v75 dst_sel:DWORD dst_unused:UNUSED_PAD src0_sel:DWORD src1_sel:BYTE_1
	v_lshrrev_b16_e32 v76, 1, v76
	v_and_b32_e32 v76, 0x7f, v76
	v_add_u16_sdwa v75, v76, v75 dst_sel:DWORD dst_unused:UNUSED_PAD src0_sel:DWORD src1_sel:BYTE_1
	v_lshrrev_b16_e32 v90, 3, v75
	v_mul_lo_u16_e32 v75, 11, v90
	v_sub_u16_e32 v75, v57, v75
	v_lshlrev_b32_sdwa v91, v66, v75 dst_sel:DWORD dst_unused:UNUSED_PAD src0_sel:DWORD src1_sel:BYTE_0
	v_mul_lo_u16_sdwa v75, v56, s4 dst_sel:DWORD dst_unused:UNUSED_PAD src0_sel:BYTE_0 src1_sel:DWORD
	v_sub_u16_sdwa v76, v56, v75 dst_sel:DWORD dst_unused:UNUSED_PAD src0_sel:DWORD src1_sel:BYTE_1
	v_lshrrev_b16_e32 v76, 1, v76
	v_mul_lo_u16_sdwa v83, v55, s4 dst_sel:DWORD dst_unused:UNUSED_PAD src0_sel:BYTE_0 src1_sel:DWORD
	v_and_b32_e32 v76, 0x7f, v76
	v_sub_u16_sdwa v84, v55, v83 dst_sel:DWORD dst_unused:UNUSED_PAD src0_sel:DWORD src1_sel:BYTE_1
	v_add_u16_sdwa v75, v76, v75 dst_sel:DWORD dst_unused:UNUSED_PAD src0_sel:DWORD src1_sel:BYTE_1
	v_lshrrev_b16_e32 v84, 1, v84
	v_lshrrev_b16_e32 v92, 3, v75
	v_and_b32_e32 v84, 0x7f, v84
	v_mul_lo_u16_e32 v75, 11, v92
	v_add_u16_sdwa v83, v84, v83 dst_sel:DWORD dst_unused:UNUSED_PAD src0_sel:DWORD src1_sel:BYTE_1
	v_sub_u16_e32 v75, v56, v75
	v_lshrrev_b16_e32 v94, 3, v83
	v_lshlrev_b32_sdwa v93, v66, v75 dst_sel:DWORD dst_unused:UNUSED_PAD src0_sel:DWORD src1_sel:BYTE_0
	global_load_dwordx4 v[75:78], v91, s[8:9]
	global_load_dwordx4 v[79:82], v93, s[8:9]
	v_mul_lo_u16_e32 v83, 11, v94
	v_sub_u16_e32 v83, v55, v83
	v_lshlrev_b32_sdwa v95, v66, v83 dst_sel:DWORD dst_unused:UNUSED_PAD src0_sel:DWORD src1_sel:BYTE_0
	global_load_dwordx4 v[83:86], v95, s[8:9]
	v_mov_b32_e32 v96, 0x160
	v_cmp_lt_u32_e64 s[2:3], 10, v48
	v_cndmask_b32_e64 v96, 0, v96, s[2:3]
	s_movk_i32 s5, 0x160
	v_add_u32_e32 v96, 0, v96
	v_lshlrev_b32_e32 v87, 4, v87
	v_add3_u32 v97, v96, v87, v58
	v_mad_u32_u24 v87, v88, s5, 0
	v_mad_u32_u24 v88, v90, s5, 0
	v_add3_u32 v98, v87, v89, v58
	v_add3_u32 v99, v88, v91, v58
	v_mad_u32_u24 v90, v92, s5, 0
	v_mad_u32_u24 v92, v94, s5, 0
	v_add3_u32 v100, v90, v93, v58
	v_add3_u32 v101, v92, v95, v58
	s_waitcnt vmcnt(0) lgkmcnt(0)
	s_barrier
	v_mul_f64 v[87:88], v[30:31], v[69:70]
	v_mul_f64 v[69:70], v[28:29], v[69:70]
	;; [unrolled: 1-line block ×4, first 2 shown]
	v_fma_f64 v[28:29], v[28:29], v[67:68], -v[87:88]
	v_fma_f64 v[30:31], v[30:31], v[67:68], v[69:70]
	v_fma_f64 v[40:41], v[40:41], v[71:72], -v[89:90]
	v_fma_f64 v[42:43], v[42:43], v[71:72], v[73:74]
	v_add_f64 v[28:29], v[24:25], -v[28:29]
	v_add_f64 v[30:31], v[26:27], -v[30:31]
	v_fma_f64 v[24:25], v[24:25], 2.0, -v[28:29]
	v_mul_f64 v[91:92], v[34:35], v[77:78]
	v_mul_f64 v[77:78], v[32:33], v[77:78]
	;; [unrolled: 1-line block ×4, first 2 shown]
	v_fma_f64 v[26:27], v[26:27], 2.0, -v[30:31]
	v_mul_f64 v[95:96], v[38:39], v[85:86]
	v_mul_f64 v[85:86], v[36:37], v[85:86]
	ds_write_b128 v97, v[28:31] offset:176
	v_fma_f64 v[67:68], v[32:33], v[75:76], -v[91:92]
	v_fma_f64 v[69:70], v[34:35], v[75:76], v[77:78]
	v_fma_f64 v[44:45], v[44:45], v[79:80], -v[93:94]
	v_fma_f64 v[46:47], v[46:47], v[79:80], v[81:82]
	v_add_f64 v[32:33], v[16:17], -v[40:41]
	v_fma_f64 v[71:72], v[36:37], v[83:84], -v[95:96]
	v_fma_f64 v[73:74], v[38:39], v[83:84], v[85:86]
	v_add_f64 v[34:35], v[18:19], -v[42:43]
	v_add_f64 v[36:37], v[8:9], -v[67:68]
	;; [unrolled: 1-line block ×5, first 2 shown]
	v_fma_f64 v[16:17], v[16:17], 2.0, -v[32:33]
	v_add_f64 v[44:45], v[12:13], -v[71:72]
	v_add_f64 v[46:47], v[14:15], -v[73:74]
	v_fma_f64 v[18:19], v[18:19], 2.0, -v[34:35]
	v_fma_f64 v[8:9], v[8:9], 2.0, -v[36:37]
	;; [unrolled: 1-line block ×7, first 2 shown]
	ds_write_b128 v97, v[24:27]
	ds_write_b128 v98, v[32:35] offset:176
	ds_write_b128 v98, v[16:19]
	ds_write_b128 v99, v[8:11]
	ds_write_b128 v99, v[36:39] offset:176
	ds_write_b128 v100, v[20:23]
	ds_write_b128 v100, v[40:43] offset:176
	ds_write_b128 v101, v[12:15]
	ds_write_b128 v101, v[44:47] offset:176
	s_and_saveexec_b64 s[2:3], s[0:1]
	s_cbranch_execz .LBB0_16
; %bb.15:
	v_mul_lo_u16_sdwa v8, v54, s4 dst_sel:DWORD dst_unused:UNUSED_PAD src0_sel:BYTE_0 src1_sel:DWORD
	v_sub_u16_sdwa v9, v54, v8 dst_sel:DWORD dst_unused:UNUSED_PAD src0_sel:DWORD src1_sel:BYTE_1
	v_lshrrev_b16_e32 v9, 1, v9
	v_and_b32_e32 v9, 0x7f, v9
	v_add_u16_sdwa v8, v9, v8 dst_sel:DWORD dst_unused:UNUSED_PAD src0_sel:DWORD src1_sel:BYTE_1
	v_lshrrev_b16_e32 v8, 3, v8
	v_mul_lo_u16_e32 v8, 11, v8
	v_sub_u16_e32 v8, v54, v8
	v_lshlrev_b32_sdwa v14, v66, v8 dst_sel:DWORD dst_unused:UNUSED_PAD src0_sel:DWORD src1_sel:BYTE_0
	global_load_dwordx4 v[8:11], v14, s[8:9]
	s_waitcnt vmcnt(0)
	v_mul_f64 v[12:13], v[4:5], v[10:11]
	v_mul_f64 v[10:11], v[6:7], v[10:11]
	v_fma_f64 v[6:7], v[6:7], v[8:9], v[12:13]
	v_fma_f64 v[4:5], v[4:5], v[8:9], -v[10:11]
	v_add3_u32 v8, 0, v14, v58
	v_add_f64 v[6:7], v[2:3], -v[6:7]
	v_add_f64 v[4:5], v[0:1], -v[4:5]
	v_fma_f64 v[2:3], v[2:3], 2.0, -v[6:7]
	v_fma_f64 v[0:1], v[0:1], 2.0, -v[4:5]
	ds_write_b128 v8, v[0:3] offset:3520
	ds_write_b128 v8, v[4:7] offset:3696
.LBB0_16:
	s_or_b64 exec, exec, s[2:3]
	v_mul_u32_u24_e32 v0, 10, v48
	v_lshlrev_b32_e32 v40, 4, v0
	s_waitcnt lgkmcnt(0)
	s_barrier
	global_load_dwordx4 v[0:3], v40, s[8:9] offset:176
	global_load_dwordx4 v[4:7], v40, s[8:9] offset:192
	;; [unrolled: 1-line block ×10, first 2 shown]
	ds_read_b128 v[40:43], v64
	ds_read_b128 v[44:47], v63
	;; [unrolled: 1-line block ×4, first 2 shown]
	v_add3_u32 v58, 0, v65, v58
	ds_read_b128 v[74:77], v59
	ds_read_b128 v[78:81], v49 offset:2112
	ds_read_b128 v[82:85], v49 offset:2464
	;; [unrolled: 1-line block ×5, first 2 shown]
	ds_read_b128 v[98:101], v58
	s_mov_b32 s22, 0xf8bb580b
	s_mov_b32 s6, 0x43842ef
	;; [unrolled: 1-line block ×26, first 2 shown]
	s_waitcnt vmcnt(0) lgkmcnt(0)
	s_barrier
	v_mul_f64 v[102:103], v[42:43], v[2:3]
	v_mul_f64 v[2:3], v[40:41], v[2:3]
	;; [unrolled: 1-line block ×15, first 2 shown]
	v_fma_f64 v[40:41], v[40:41], v[0:1], -v[102:103]
	v_fma_f64 v[0:1], v[42:43], v[0:1], v[2:3]
	v_mul_f64 v[2:3], v[86:87], v[30:31]
	v_mul_f64 v[30:31], v[92:93], v[34:35]
	;; [unrolled: 1-line block ×4, first 2 shown]
	v_fma_f64 v[44:45], v[44:45], v[4:5], -v[104:105]
	v_fma_f64 v[4:5], v[46:47], v[4:5], v[6:7]
	v_mul_f64 v[6:7], v[94:95], v[38:39]
	v_fma_f64 v[38:39], v[66:67], v[8:9], -v[106:107]
	v_fma_f64 v[8:9], v[68:69], v[8:9], v[10:11]
	v_fma_f64 v[10:11], v[70:71], v[12:13], -v[108:109]
	v_fma_f64 v[12:13], v[72:73], v[12:13], v[14:15]
	;; [unrolled: 2-line block ×8, first 2 shown]
	v_add_f64 v[32:33], v[74:75], v[40:41]
	v_add_f64 v[34:35], v[76:77], v[0:1]
	;; [unrolled: 1-line block ×4, first 2 shown]
	v_add_f64 v[0:1], v[0:1], -v[6:7]
	v_add_f64 v[40:41], v[40:41], -v[26:27]
	v_add_f64 v[65:66], v[44:45], v[2:3]
	v_add_f64 v[67:68], v[4:5], v[30:31]
	v_add_f64 v[71:72], v[4:5], -v[30:31]
	v_add_f64 v[32:33], v[32:33], v[44:45]
	v_add_f64 v[4:5], v[34:35], v[4:5]
	v_add_f64 v[69:70], v[44:45], -v[2:3]
	v_mul_f64 v[34:35], v[0:1], s[22:23]
	v_mul_f64 v[78:79], v[0:1], s[10:11]
	;; [unrolled: 1-line block ×5, first 2 shown]
	v_add_f64 v[32:33], v[32:33], v[38:39]
	v_add_f64 v[4:5], v[4:5], v[8:9]
	v_mul_f64 v[44:45], v[40:41], s[22:23]
	v_fma_f64 v[96:97], v[42:43], s[14:15], -v[34:35]
	v_fma_f64 v[34:35], v[42:43], s[14:15], v[34:35]
	v_fma_f64 v[100:101], v[42:43], s[2:3], -v[78:79]
	v_fma_f64 v[78:79], v[42:43], s[2:3], v[78:79]
	v_fma_f64 v[104:105], v[42:43], s[4:5], -v[82:83]
	v_add_f64 v[32:33], v[32:33], v[10:11]
	v_add_f64 v[4:5], v[4:5], v[12:13]
	v_fma_f64 v[82:83], v[42:43], s[4:5], v[82:83]
	v_fma_f64 v[108:109], v[42:43], s[16:17], -v[86:87]
	v_fma_f64 v[86:87], v[42:43], s[16:17], v[86:87]
	v_fma_f64 v[112:113], v[42:43], s[20:21], -v[0:1]
	v_fma_f64 v[42:43], v[42:43], s[20:21], v[0:1]
	v_mul_f64 v[80:81], v[40:41], s[10:11]
	v_add_f64 v[32:33], v[32:33], v[14:15]
	v_add_f64 v[4:5], v[4:5], v[16:17]
	v_mul_f64 v[84:85], v[40:41], s[6:7]
	v_mul_f64 v[88:89], v[40:41], s[18:19]
	;; [unrolled: 1-line block ×5, first 2 shown]
	v_fma_f64 v[98:99], v[46:47], s[14:15], v[44:45]
	v_add_f64 v[0:1], v[32:33], v[18:19]
	v_add_f64 v[4:5], v[4:5], v[20:21]
	v_fma_f64 v[44:45], v[46:47], s[14:15], -v[44:45]
	v_fma_f64 v[102:103], v[46:47], s[2:3], v[80:81]
	v_fma_f64 v[80:81], v[46:47], s[2:3], -v[80:81]
	v_fma_f64 v[106:107], v[46:47], s[4:5], v[84:85]
	;; [unrolled: 2-line block ×3, first 2 shown]
	v_add_f64 v[0:1], v[0:1], v[22:23]
	v_add_f64 v[4:5], v[4:5], v[24:25]
	v_fma_f64 v[88:89], v[46:47], s[16:17], -v[88:89]
	v_fma_f64 v[114:115], v[46:47], s[20:21], v[40:41]
	v_fma_f64 v[32:33], v[46:47], s[20:21], -v[40:41]
	v_fma_f64 v[40:41], v[65:66], s[2:3], -v[90:91]
	v_fma_f64 v[90:91], v[65:66], s[2:3], v[90:91]
	v_add_f64 v[34:35], v[74:75], v[34:35]
	v_add_f64 v[0:1], v[0:1], v[36:37]
	;; [unrolled: 1-line block ×3, first 2 shown]
	v_fma_f64 v[46:47], v[67:68], s[2:3], v[92:93]
	v_add_f64 v[96:97], v[74:75], v[96:97]
	v_add_f64 v[98:99], v[76:77], v[98:99]
	;; [unrolled: 1-line block ×15, first 2 shown]
	v_mul_f64 v[6:7], v[69:70], s[18:19]
	v_add_f64 v[30:31], v[76:77], v[110:111]
	v_add_f64 v[86:87], v[74:75], v[86:87]
	;; [unrolled: 1-line block ×9, first 2 shown]
	v_fma_f64 v[73:74], v[67:68], s[16:17], v[6:7]
	v_mul_f64 v[75:76], v[71:72], s[30:31]
	v_mul_f64 v[90:91], v[69:70], s[30:31]
	;; [unrolled: 1-line block ×3, first 2 shown]
	v_fma_f64 v[92:93], v[67:68], s[2:3], -v[92:93]
	v_add_f64 v[40:41], v[40:41], v[96:97]
	v_add_f64 v[42:43], v[46:47], v[98:99]
	v_fma_f64 v[6:7], v[67:68], s[16:17], -v[6:7]
	v_add_f64 v[73:74], v[73:74], v[102:103]
	v_fma_f64 v[96:97], v[65:66], s[20:21], -v[75:76]
	v_fma_f64 v[98:99], v[67:68], s[20:21], v[90:91]
	v_fma_f64 v[75:76], v[65:66], s[20:21], v[75:76]
	v_fma_f64 v[90:91], v[67:68], s[20:21], -v[90:91]
	v_mul_f64 v[102:103], v[69:70], s[28:29]
	v_fma_f64 v[116:117], v[65:66], s[16:17], -v[94:95]
	v_add_f64 v[44:45], v[92:93], v[44:45]
	v_mul_f64 v[92:93], v[71:72], s[28:29]
	v_add_f64 v[6:7], v[6:7], v[80:81]
	v_fma_f64 v[94:95], v[65:66], s[16:17], v[94:95]
	v_add_f64 v[75:76], v[75:76], v[82:83]
	v_add_f64 v[81:82], v[90:91], v[84:85]
	v_fma_f64 v[83:84], v[67:68], s[4:5], v[102:103]
	v_add_f64 v[46:47], v[116:117], v[100:101]
	v_mul_f64 v[71:72], v[71:72], s[26:27]
	v_fma_f64 v[100:101], v[65:66], s[4:5], -v[92:93]
	v_fma_f64 v[90:91], v[65:66], s[4:5], v[92:93]
	v_add_f64 v[92:93], v[8:9], -v[28:29]
	v_mul_f64 v[69:70], v[69:70], s[26:27]
	v_add_f64 v[77:78], v[94:95], v[78:79]
	v_add_f64 v[30:31], v[83:84], v[30:31]
	v_add_f64 v[83:84], v[38:39], -v[36:37]
	v_add_f64 v[79:80], v[96:97], v[104:105]
	v_add_f64 v[94:95], v[98:99], v[106:107]
	v_fma_f64 v[96:97], v[67:68], s[4:5], -v[102:103]
	v_add_f64 v[85:86], v[90:91], v[86:87]
	v_add_f64 v[36:37], v[38:39], v[36:37]
	v_mul_f64 v[38:39], v[92:93], s[6:7]
	v_fma_f64 v[90:91], v[65:66], s[14:15], -v[71:72]
	v_fma_f64 v[98:99], v[67:68], s[14:15], v[69:70]
	v_add_f64 v[8:9], v[8:9], v[28:29]
	v_mul_f64 v[28:29], v[83:84], s[6:7]
	v_add_f64 v[4:5], v[100:101], v[4:5]
	v_add_f64 v[87:88], v[96:97], v[88:89]
	v_fma_f64 v[65:66], v[65:66], s[14:15], v[71:72]
	v_fma_f64 v[67:68], v[67:68], s[14:15], -v[69:70]
	v_fma_f64 v[69:70], v[36:37], s[4:5], -v[38:39]
	v_add_f64 v[71:72], v[90:91], v[108:109]
	v_add_f64 v[89:90], v[98:99], v[110:111]
	v_mul_f64 v[96:97], v[92:93], s[30:31]
	v_mul_f64 v[98:99], v[83:84], s[30:31]
	v_fma_f64 v[100:101], v[8:9], s[4:5], v[28:29]
	s_mov_b32 s11, 0x3fed1bb4
	v_add_f64 v[26:27], v[65:66], v[26:27]
	v_add_f64 v[32:33], v[67:68], v[32:33]
	v_add_f64 v[40:41], v[69:70], v[40:41]
	v_fma_f64 v[38:39], v[36:37], s[4:5], v[38:39]
	v_fma_f64 v[28:29], v[8:9], s[4:5], -v[28:29]
	v_fma_f64 v[65:66], v[36:37], s[20:21], -v[96:97]
	v_fma_f64 v[67:68], v[8:9], s[20:21], v[98:99]
	v_add_f64 v[42:43], v[100:101], v[42:43]
	v_mul_f64 v[69:70], v[92:93], s[10:11]
	v_mul_f64 v[100:101], v[83:84], s[10:11]
	v_add_f64 v[34:35], v[38:39], v[34:35]
	v_add_f64 v[28:29], v[28:29], v[44:45]
	;; [unrolled: 1-line block ×4, first 2 shown]
	v_fma_f64 v[46:47], v[36:37], s[20:21], v[96:97]
	v_fma_f64 v[65:66], v[8:9], s[20:21], -v[98:99]
	v_fma_f64 v[67:68], v[36:37], s[2:3], -v[69:70]
	v_fma_f64 v[73:74], v[8:9], s[2:3], v[100:101]
	v_mul_f64 v[96:97], v[92:93], s[22:23]
	v_mul_f64 v[98:99], v[83:84], s[22:23]
	v_fma_f64 v[69:70], v[36:37], s[2:3], v[69:70]
	v_fma_f64 v[100:101], v[8:9], s[2:3], -v[100:101]
	v_add_f64 v[46:47], v[46:47], v[77:78]
	v_add_f64 v[6:7], v[65:66], v[6:7]
	;; [unrolled: 1-line block ×4, first 2 shown]
	v_fma_f64 v[73:74], v[36:37], s[14:15], -v[96:97]
	v_fma_f64 v[77:78], v[8:9], s[14:15], v[98:99]
	v_add_f64 v[69:70], v[69:70], v[75:76]
	v_add_f64 v[75:76], v[100:101], v[81:82]
	v_mul_f64 v[79:80], v[92:93], s[18:19]
	v_mul_f64 v[81:82], v[83:84], s[18:19]
	v_fma_f64 v[83:84], v[36:37], s[14:15], v[96:97]
	v_fma_f64 v[91:92], v[8:9], s[14:15], -v[98:99]
	v_add_f64 v[4:5], v[73:74], v[4:5]
	v_add_f64 v[30:31], v[77:78], v[30:31]
	v_add_f64 v[73:74], v[12:13], -v[24:25]
	v_add_f64 v[77:78], v[10:11], -v[22:23]
	v_fma_f64 v[93:94], v[36:37], s[16:17], -v[79:80]
	v_fma_f64 v[95:96], v[8:9], s[16:17], v[81:82]
	v_add_f64 v[10:11], v[10:11], v[22:23]
	v_add_f64 v[12:13], v[12:13], v[24:25]
	v_fma_f64 v[36:37], v[36:37], s[16:17], v[79:80]
	v_fma_f64 v[8:9], v[8:9], s[16:17], -v[81:82]
	v_mul_f64 v[22:23], v[73:74], s[18:19]
	v_mul_f64 v[24:25], v[77:78], s[18:19]
	;; [unrolled: 1-line block ×3, first 2 shown]
	v_add_f64 v[83:84], v[83:84], v[85:86]
	v_add_f64 v[85:86], v[91:92], v[87:88]
	;; [unrolled: 1-line block ×3, first 2 shown]
	v_mul_f64 v[81:82], v[77:78], s[28:29]
	v_add_f64 v[8:9], v[8:9], v[32:33]
	v_fma_f64 v[89:90], v[10:11], s[16:17], -v[22:23]
	v_fma_f64 v[91:92], v[12:13], s[16:17], v[24:25]
	v_fma_f64 v[22:23], v[10:11], s[16:17], v[22:23]
	v_fma_f64 v[24:25], v[12:13], s[16:17], -v[24:25]
	v_fma_f64 v[32:33], v[10:11], s[4:5], -v[79:80]
	v_add_f64 v[71:72], v[93:94], v[71:72]
	v_add_f64 v[26:27], v[36:37], v[26:27]
	v_fma_f64 v[36:37], v[12:13], s[4:5], v[81:82]
	v_add_f64 v[40:41], v[89:90], v[40:41]
	v_add_f64 v[42:43], v[91:92], v[42:43]
	;; [unrolled: 1-line block ×4, first 2 shown]
	v_mul_f64 v[28:29], v[73:74], s[22:23]
	v_mul_f64 v[34:35], v[77:78], s[22:23]
	v_add_f64 v[32:33], v[32:33], v[38:39]
	v_mul_f64 v[38:39], v[73:74], s[24:25]
	v_fma_f64 v[79:80], v[10:11], s[4:5], v[79:80]
	v_fma_f64 v[81:82], v[12:13], s[4:5], -v[81:82]
	v_add_f64 v[36:37], v[36:37], v[44:45]
	v_mul_f64 v[44:45], v[77:78], s[24:25]
	v_fma_f64 v[89:90], v[10:11], s[14:15], -v[28:29]
	v_fma_f64 v[91:92], v[12:13], s[14:15], v[34:35]
	v_fma_f64 v[28:29], v[10:11], s[14:15], v[28:29]
	v_fma_f64 v[34:35], v[12:13], s[14:15], -v[34:35]
	v_fma_f64 v[93:94], v[10:11], s[20:21], -v[38:39]
	v_add_f64 v[46:47], v[79:80], v[46:47]
	v_add_f64 v[79:80], v[81:82], v[6:7]
	v_add_f64 v[81:82], v[14:15], -v[18:19]
	v_mul_f64 v[6:7], v[77:78], s[10:11]
	v_fma_f64 v[38:39], v[10:11], s[20:21], v[38:39]
	v_add_f64 v[28:29], v[28:29], v[69:70]
	v_add_f64 v[34:35], v[34:35], v[75:76]
	;; [unrolled: 1-line block ×3, first 2 shown]
	v_add_f64 v[75:76], v[16:17], -v[20:21]
	v_mul_f64 v[4:5], v[73:74], s[10:11]
	v_add_f64 v[73:74], v[14:15], v[18:19]
	v_add_f64 v[77:78], v[16:17], v[20:21]
	v_mul_f64 v[16:17], v[81:82], s[24:25]
	v_fma_f64 v[20:21], v[12:13], s[2:3], v[6:7]
	v_fma_f64 v[95:96], v[12:13], s[20:21], v[44:45]
	v_fma_f64 v[44:45], v[12:13], s[20:21], -v[44:45]
	v_mul_f64 v[14:15], v[75:76], s[24:25]
	v_fma_f64 v[18:19], v[10:11], s[2:3], -v[4:5]
	v_add_f64 v[38:39], v[38:39], v[83:84]
	v_fma_f64 v[4:5], v[10:11], s[2:3], v[4:5]
	v_fma_f64 v[6:7], v[12:13], s[2:3], -v[6:7]
	v_fma_f64 v[12:13], v[77:78], s[20:21], v[16:17]
	v_add_f64 v[83:84], v[20:21], v[87:88]
	v_mul_f64 v[20:21], v[81:82], s[26:27]
	v_fma_f64 v[10:11], v[73:74], s[20:21], -v[14:15]
	v_add_f64 v[71:72], v[18:19], v[71:72]
	v_mul_f64 v[18:19], v[75:76], s[26:27]
	v_add_f64 v[44:45], v[44:45], v[85:86]
	v_add_f64 v[85:86], v[4:5], v[26:27]
	;; [unrolled: 1-line block ×4, first 2 shown]
	v_fma_f64 v[8:9], v[73:74], s[20:21], v[14:15]
	v_add_f64 v[4:5], v[10:11], v[40:41]
	v_fma_f64 v[10:11], v[77:78], s[20:21], -v[16:17]
	v_fma_f64 v[12:13], v[73:74], s[14:15], -v[18:19]
	v_fma_f64 v[14:15], v[77:78], s[14:15], v[20:21]
	v_mul_f64 v[26:27], v[75:76], s[18:19]
	v_mul_f64 v[40:41], v[81:82], s[18:19]
	v_fma_f64 v[16:17], v[73:74], s[14:15], v[18:19]
	v_fma_f64 v[18:19], v[77:78], s[14:15], -v[20:21]
	v_add_f64 v[65:66], v[89:90], v[65:66]
	v_add_f64 v[10:11], v[10:11], v[24:25]
	;; [unrolled: 1-line block ×4, first 2 shown]
	v_fma_f64 v[20:21], v[73:74], s[16:17], -v[26:27]
	v_fma_f64 v[24:25], v[73:74], s[16:17], v[26:27]
	v_fma_f64 v[26:27], v[77:78], s[16:17], -v[40:41]
	v_mul_f64 v[32:33], v[75:76], s[10:11]
	v_mul_f64 v[36:37], v[81:82], s[10:11]
	v_add_f64 v[8:9], v[8:9], v[22:23]
	v_fma_f64 v[22:23], v[77:78], s[16:17], v[40:41]
	v_mul_f64 v[40:41], v[75:76], s[6:7]
	v_mul_f64 v[42:43], v[81:82], s[6:7]
	v_add_f64 v[67:68], v[91:92], v[67:68]
	v_add_f64 v[30:31], v[95:96], v[30:31]
	;; [unrolled: 1-line block ×4, first 2 shown]
	v_fma_f64 v[28:29], v[73:74], s[2:3], -v[32:33]
	v_fma_f64 v[34:35], v[77:78], s[2:3], v[36:37]
	v_add_f64 v[16:17], v[16:17], v[46:47]
	v_add_f64 v[20:21], v[20:21], v[65:66]
	v_fma_f64 v[32:33], v[73:74], s[2:3], v[32:33]
	v_fma_f64 v[36:37], v[77:78], s[2:3], -v[36:37]
	v_fma_f64 v[46:47], v[73:74], s[4:5], -v[40:41]
	v_fma_f64 v[65:66], v[77:78], s[4:5], v[42:43]
	v_fma_f64 v[40:41], v[73:74], s[4:5], v[40:41]
	v_fma_f64 v[42:43], v[77:78], s[4:5], -v[42:43]
	v_add_f64 v[22:23], v[22:23], v[67:68]
	v_add_f64 v[28:29], v[28:29], v[69:70]
	;; [unrolled: 1-line block ×10, first 2 shown]
	ds_write_b128 v49, v[0:3]
	ds_write_b128 v49, v[4:7] offset:352
	ds_write_b128 v49, v[12:15] offset:704
	;; [unrolled: 1-line block ×10, first 2 shown]
	s_waitcnt lgkmcnt(0)
	s_barrier
	ds_read_b128 v[4:7], v59
	v_sub_u32_e32 v10, v60, v53
	v_cmp_ne_u32_e64 s[2:3], 0, v48
                                        ; implicit-def: $vgpr2_vgpr3
                                        ; implicit-def: $vgpr8_vgpr9
	s_and_saveexec_b64 s[4:5], s[2:3]
	s_xor_b64 s[4:5], exec, s[4:5]
	s_cbranch_execz .LBB0_18
; %bb.17:
	v_mov_b32_e32 v49, 0
	v_lshlrev_b64 v[0:1], 4, v[48:49]
	v_mov_b32_e32 v2, s9
	v_add_co_u32_e64 v0, s[2:3], s8, v0
	v_addc_co_u32_e64 v1, s[2:3], v2, v1, s[2:3]
	global_load_dwordx4 v[11:14], v[0:1], off offset:3696
	ds_read_b128 v[0:3], v10 offset:3872
	s_waitcnt lgkmcnt(0)
	v_add_f64 v[8:9], v[4:5], -v[0:1]
	v_add_f64 v[15:16], v[6:7], v[2:3]
	v_add_f64 v[2:3], v[6:7], -v[2:3]
	v_add_f64 v[0:1], v[4:5], v[0:1]
	v_mul_f64 v[6:7], v[8:9], 0.5
	v_mul_f64 v[4:5], v[15:16], 0.5
	;; [unrolled: 1-line block ×3, first 2 shown]
	s_waitcnt vmcnt(0)
	v_mul_f64 v[8:9], v[6:7], v[13:14]
	v_fma_f64 v[15:16], v[4:5], v[13:14], v[2:3]
	v_fma_f64 v[2:3], v[4:5], v[13:14], -v[2:3]
	v_fma_f64 v[17:18], v[0:1], 0.5, v[8:9]
	v_fma_f64 v[0:1], v[0:1], 0.5, -v[8:9]
	v_fma_f64 v[8:9], -v[11:12], v[6:7], v[15:16]
	v_fma_f64 v[2:3], -v[11:12], v[6:7], v[2:3]
	v_fma_f64 v[13:14], v[4:5], v[11:12], v[17:18]
	v_fma_f64 v[0:1], -v[4:5], v[11:12], v[0:1]
                                        ; implicit-def: $vgpr4_vgpr5
	ds_write_b64 v59, v[13:14]
.LBB0_18:
	s_andn2_saveexec_b64 s[2:3], s[4:5]
	s_cbranch_execz .LBB0_20
; %bb.19:
	s_waitcnt lgkmcnt(0)
	v_add_f64 v[2:3], v[4:5], v[6:7]
	ds_read_b64 v[11:12], v60 offset:1944
	v_add_f64 v[0:1], v[4:5], -v[6:7]
	v_mov_b32_e32 v8, 0
	v_mov_b32_e32 v9, 0
	s_waitcnt lgkmcnt(0)
	v_xor_b32_e32 v12, 0x80000000, v12
	ds_write_b64 v60, v[11:12] offset:1944
	ds_write_b64 v59, v[2:3]
	v_mov_b32_e32 v2, v8
	v_mov_b32_e32 v3, v9
.LBB0_20:
	s_or_b64 exec, exec, s[2:3]
	v_mov_b32_e32 v53, 0
	s_waitcnt lgkmcnt(0)
	v_lshlrev_b64 v[4:5], 4, v[52:53]
	v_mov_b32_e32 v27, s9
	v_add_co_u32_e64 v4, s[2:3], s8, v4
	v_addc_co_u32_e64 v5, s[2:3], v27, v5, s[2:3]
	global_load_dwordx4 v[4:7], v[4:5], off offset:3696
	v_mov_b32_e32 v58, v53
	v_lshlrev_b64 v[11:12], 4, v[57:58]
	v_mov_b32_e32 v57, v53
	v_add_co_u32_e64 v11, s[2:3], s8, v11
	v_addc_co_u32_e64 v12, s[2:3], v27, v12, s[2:3]
	global_load_dwordx4 v[11:14], v[11:12], off offset:3696
	ds_write_b64 v59, v[8:9] offset:8
	ds_write_b128 v10, v[0:3] offset:3872
	ds_read_b128 v[0:3], v64
	ds_read_b128 v[15:18], v10 offset:3520
	s_waitcnt lgkmcnt(0)
	v_add_f64 v[8:9], v[0:1], -v[15:16]
	v_add_f64 v[19:20], v[2:3], v[17:18]
	v_add_f64 v[2:3], v[2:3], -v[17:18]
	v_add_f64 v[0:1], v[0:1], v[15:16]
	v_lshlrev_b64 v[15:16], 4, v[56:57]
	v_mov_b32_e32 v56, v53
	v_mul_f64 v[17:18], v[8:9], 0.5
	v_mul_f64 v[19:20], v[19:20], 0.5
	;; [unrolled: 1-line block ×3, first 2 shown]
	s_waitcnt vmcnt(1)
	v_mul_f64 v[8:9], v[17:18], v[6:7]
	v_fma_f64 v[21:22], v[19:20], v[6:7], v[2:3]
	v_fma_f64 v[6:7], v[19:20], v[6:7], -v[2:3]
	v_fma_f64 v[23:24], v[0:1], 0.5, v[8:9]
	v_fma_f64 v[25:26], v[0:1], 0.5, -v[8:9]
	v_add_co_u32_e64 v0, s[2:3], s8, v15
	v_addc_co_u32_e64 v1, s[2:3], v27, v16, s[2:3]
	global_load_dwordx4 v[0:3], v[0:1], off offset:3696
	v_fma_f64 v[8:9], -v[4:5], v[17:18], v[21:22]
	v_fma_f64 v[17:18], -v[4:5], v[17:18], v[6:7]
	v_fma_f64 v[6:7], v[19:20], v[4:5], v[23:24]
	v_fma_f64 v[15:16], -v[19:20], v[4:5], v[25:26]
	ds_write_b128 v64, v[6:9]
	ds_write_b128 v10, v[15:18] offset:3520
	ds_read_b128 v[4:7], v63
	ds_read_b128 v[15:18], v10 offset:3168
	s_waitcnt lgkmcnt(0)
	v_add_f64 v[8:9], v[4:5], -v[15:16]
	v_add_f64 v[19:20], v[6:7], v[17:18]
	v_add_f64 v[6:7], v[6:7], -v[17:18]
	v_add_f64 v[4:5], v[4:5], v[15:16]
	v_mul_f64 v[8:9], v[8:9], 0.5
	v_mul_f64 v[17:18], v[19:20], 0.5
	;; [unrolled: 1-line block ×3, first 2 shown]
	v_lshlrev_b64 v[19:20], 4, v[55:56]
	s_waitcnt vmcnt(1)
	v_mul_f64 v[15:16], v[8:9], v[13:14]
	v_fma_f64 v[21:22], v[17:18], v[13:14], v[6:7]
	v_fma_f64 v[13:14], v[17:18], v[13:14], -v[6:7]
	v_fma_f64 v[23:24], v[4:5], 0.5, v[15:16]
	v_fma_f64 v[25:26], v[4:5], 0.5, -v[15:16]
	v_add_co_u32_e64 v4, s[2:3], s8, v19
	v_addc_co_u32_e64 v5, s[2:3], v27, v20, s[2:3]
	global_load_dwordx4 v[4:7], v[4:5], off offset:3696
	v_fma_f64 v[15:16], -v[11:12], v[8:9], v[21:22]
	v_fma_f64 v[19:20], -v[11:12], v[8:9], v[13:14]
	v_fma_f64 v[13:14], v[17:18], v[11:12], v[23:24]
	v_fma_f64 v[17:18], -v[17:18], v[11:12], v[25:26]
	ds_write_b128 v63, v[13:16]
	ds_write_b128 v10, v[17:20] offset:3168
	ds_read_b128 v[11:14], v62
	ds_read_b128 v[15:18], v10 offset:2816
	s_waitcnt lgkmcnt(0)
	v_add_f64 v[8:9], v[11:12], -v[15:16]
	v_add_f64 v[19:20], v[13:14], v[17:18]
	v_add_f64 v[13:14], v[13:14], -v[17:18]
	v_add_f64 v[11:12], v[11:12], v[15:16]
	v_mul_f64 v[8:9], v[8:9], 0.5
	v_mul_f64 v[17:18], v[19:20], 0.5
	;; [unrolled: 1-line block ×3, first 2 shown]
	s_waitcnt vmcnt(1)
	v_mul_f64 v[15:16], v[8:9], v[2:3]
	v_fma_f64 v[19:20], v[17:18], v[2:3], v[13:14]
	v_fma_f64 v[2:3], v[17:18], v[2:3], -v[13:14]
	v_fma_f64 v[21:22], v[11:12], 0.5, v[15:16]
	v_fma_f64 v[15:16], v[11:12], 0.5, -v[15:16]
	v_fma_f64 v[13:14], -v[0:1], v[8:9], v[19:20]
	v_fma_f64 v[2:3], -v[0:1], v[8:9], v[2:3]
	v_fma_f64 v[11:12], v[17:18], v[0:1], v[21:22]
	v_fma_f64 v[0:1], -v[17:18], v[0:1], v[15:16]
	ds_write_b128 v62, v[11:14]
	ds_write_b128 v10, v[0:3] offset:2816
	ds_read_b128 v[0:3], v61
	ds_read_b128 v[11:14], v10 offset:2464
	s_waitcnt lgkmcnt(0)
	v_add_f64 v[8:9], v[0:1], -v[11:12]
	v_add_f64 v[15:16], v[2:3], v[13:14]
	v_add_f64 v[2:3], v[2:3], -v[13:14]
	v_add_f64 v[0:1], v[0:1], v[11:12]
	v_mul_f64 v[8:9], v[8:9], 0.5
	v_mul_f64 v[13:14], v[15:16], 0.5
	;; [unrolled: 1-line block ×3, first 2 shown]
	s_waitcnt vmcnt(0)
	v_mul_f64 v[11:12], v[8:9], v[6:7]
	v_fma_f64 v[15:16], v[13:14], v[6:7], v[2:3]
	v_fma_f64 v[6:7], v[13:14], v[6:7], -v[2:3]
	v_fma_f64 v[17:18], v[0:1], 0.5, v[11:12]
	v_fma_f64 v[11:12], v[0:1], 0.5, -v[11:12]
	v_fma_f64 v[2:3], -v[4:5], v[8:9], v[15:16]
	v_fma_f64 v[6:7], -v[4:5], v[8:9], v[6:7]
	v_fma_f64 v[0:1], v[13:14], v[4:5], v[17:18]
	v_fma_f64 v[4:5], -v[13:14], v[4:5], v[11:12]
	ds_write_b128 v61, v[0:3]
	ds_write_b128 v10, v[4:7] offset:2464
	s_and_saveexec_b64 s[2:3], s[0:1]
	s_cbranch_execz .LBB0_22
; %bb.21:
	v_mov_b32_e32 v55, v53
	v_lshlrev_b64 v[0:1], 4, v[54:55]
	v_mov_b32_e32 v2, s9
	v_add_co_u32_e64 v0, s[0:1], s8, v0
	v_addc_co_u32_e64 v1, s[0:1], v2, v1, s[0:1]
	global_load_dwordx4 v[0:3], v[0:1], off offset:3696
	v_lshl_add_u32 v17, v54, 4, v60
	ds_read_b128 v[4:7], v17
	ds_read_b128 v[11:14], v10 offset:2112
	s_waitcnt lgkmcnt(0)
	v_add_f64 v[8:9], v[4:5], -v[11:12]
	v_add_f64 v[15:16], v[6:7], v[13:14]
	v_add_f64 v[6:7], v[6:7], -v[13:14]
	v_add_f64 v[4:5], v[4:5], v[11:12]
	v_mul_f64 v[8:9], v[8:9], 0.5
	v_mul_f64 v[13:14], v[15:16], 0.5
	;; [unrolled: 1-line block ×3, first 2 shown]
	s_waitcnt vmcnt(0)
	v_mul_f64 v[11:12], v[8:9], v[2:3]
	v_fma_f64 v[15:16], v[13:14], v[2:3], v[6:7]
	v_fma_f64 v[2:3], v[13:14], v[2:3], -v[6:7]
	v_fma_f64 v[6:7], v[4:5], 0.5, v[11:12]
	v_fma_f64 v[11:12], v[4:5], 0.5, -v[11:12]
	v_fma_f64 v[4:5], -v[0:1], v[8:9], v[15:16]
	v_fma_f64 v[8:9], -v[0:1], v[8:9], v[2:3]
	v_fma_f64 v[2:3], v[13:14], v[0:1], v[6:7]
	v_fma_f64 v[6:7], -v[13:14], v[0:1], v[11:12]
	ds_write_b128 v17, v[2:5]
	ds_write_b128 v10, v[6:9] offset:2112
.LBB0_22:
	s_or_b64 exec, exec, s[2:3]
	s_waitcnt lgkmcnt(0)
	s_barrier
	s_and_saveexec_b64 s[0:1], vcc
	s_cbranch_execz .LBB0_25
; %bb.23:
	v_mov_b32_e32 v49, 0
	ds_read_b128 v[2:5], v59
	v_mov_b32_e32 v1, s13
	v_add_co_u32_e32 v0, vcc, s12, v50
	v_lshlrev_b64 v[6:7], 4, v[48:49]
	v_addc_co_u32_e32 v1, vcc, v1, v51, vcc
	v_add_co_u32_e32 v22, vcc, v0, v6
	v_addc_co_u32_e32 v23, vcc, v1, v7, vcc
	ds_read_b128 v[6:9], v59 offset:352
	s_waitcnt lgkmcnt(1)
	global_store_dwordx4 v[22:23], v[2:5], off
	ds_read_b128 v[2:5], v59 offset:704
	ds_read_b128 v[10:13], v59 offset:1056
	;; [unrolled: 1-line block ×4, first 2 shown]
	s_waitcnt lgkmcnt(4)
	global_store_dwordx4 v[22:23], v[6:9], off offset:352
	s_waitcnt lgkmcnt(3)
	global_store_dwordx4 v[22:23], v[2:5], off offset:704
	;; [unrolled: 2-line block ×5, first 2 shown]
	ds_read_b128 v[2:5], v59 offset:2112
	ds_read_b128 v[6:9], v59 offset:2464
	;; [unrolled: 1-line block ×5, first 2 shown]
	v_cmp_eq_u32_e32 vcc, 21, v48
	s_waitcnt lgkmcnt(4)
	global_store_dwordx4 v[22:23], v[2:5], off offset:2112
	s_waitcnt lgkmcnt(3)
	global_store_dwordx4 v[22:23], v[6:9], off offset:2464
	;; [unrolled: 2-line block ×5, first 2 shown]
	s_and_b64 exec, exec, vcc
	s_cbranch_execz .LBB0_25
; %bb.24:
	ds_read_b128 v[2:5], v59 offset:3536
	s_waitcnt lgkmcnt(0)
	global_store_dwordx4 v[0:1], v[2:5], off offset:3872
.LBB0_25:
	s_endpgm
	.section	.rodata,"a",@progbits
	.p2align	6, 0x0
	.amdhsa_kernel fft_rtc_fwd_len242_factors_11_2_11_wgs_110_tpt_22_dp_ip_CI_unitstride_sbrr_R2C_dirReg
		.amdhsa_group_segment_fixed_size 0
		.amdhsa_private_segment_fixed_size 0
		.amdhsa_kernarg_size 88
		.amdhsa_user_sgpr_count 6
		.amdhsa_user_sgpr_private_segment_buffer 1
		.amdhsa_user_sgpr_dispatch_ptr 0
		.amdhsa_user_sgpr_queue_ptr 0
		.amdhsa_user_sgpr_kernarg_segment_ptr 1
		.amdhsa_user_sgpr_dispatch_id 0
		.amdhsa_user_sgpr_flat_scratch_init 0
		.amdhsa_user_sgpr_private_segment_size 0
		.amdhsa_uses_dynamic_stack 0
		.amdhsa_system_sgpr_private_segment_wavefront_offset 0
		.amdhsa_system_sgpr_workgroup_id_x 1
		.amdhsa_system_sgpr_workgroup_id_y 0
		.amdhsa_system_sgpr_workgroup_id_z 0
		.amdhsa_system_sgpr_workgroup_info 0
		.amdhsa_system_vgpr_workitem_id 0
		.amdhsa_next_free_vgpr 118
		.amdhsa_next_free_sgpr 32
		.amdhsa_reserve_vcc 1
		.amdhsa_reserve_flat_scratch 0
		.amdhsa_float_round_mode_32 0
		.amdhsa_float_round_mode_16_64 0
		.amdhsa_float_denorm_mode_32 3
		.amdhsa_float_denorm_mode_16_64 3
		.amdhsa_dx10_clamp 1
		.amdhsa_ieee_mode 1
		.amdhsa_fp16_overflow 0
		.amdhsa_exception_fp_ieee_invalid_op 0
		.amdhsa_exception_fp_denorm_src 0
		.amdhsa_exception_fp_ieee_div_zero 0
		.amdhsa_exception_fp_ieee_overflow 0
		.amdhsa_exception_fp_ieee_underflow 0
		.amdhsa_exception_fp_ieee_inexact 0
		.amdhsa_exception_int_div_zero 0
	.end_amdhsa_kernel
	.text
.Lfunc_end0:
	.size	fft_rtc_fwd_len242_factors_11_2_11_wgs_110_tpt_22_dp_ip_CI_unitstride_sbrr_R2C_dirReg, .Lfunc_end0-fft_rtc_fwd_len242_factors_11_2_11_wgs_110_tpt_22_dp_ip_CI_unitstride_sbrr_R2C_dirReg
                                        ; -- End function
	.section	.AMDGPU.csdata,"",@progbits
; Kernel info:
; codeLenInByte = 10312
; NumSgprs: 36
; NumVgprs: 118
; ScratchSize: 0
; MemoryBound: 0
; FloatMode: 240
; IeeeMode: 1
; LDSByteSize: 0 bytes/workgroup (compile time only)
; SGPRBlocks: 4
; VGPRBlocks: 29
; NumSGPRsForWavesPerEU: 36
; NumVGPRsForWavesPerEU: 118
; Occupancy: 2
; WaveLimiterHint : 1
; COMPUTE_PGM_RSRC2:SCRATCH_EN: 0
; COMPUTE_PGM_RSRC2:USER_SGPR: 6
; COMPUTE_PGM_RSRC2:TRAP_HANDLER: 0
; COMPUTE_PGM_RSRC2:TGID_X_EN: 1
; COMPUTE_PGM_RSRC2:TGID_Y_EN: 0
; COMPUTE_PGM_RSRC2:TGID_Z_EN: 0
; COMPUTE_PGM_RSRC2:TIDIG_COMP_CNT: 0
	.type	__hip_cuid_7a3efe08e7d5943c,@object ; @__hip_cuid_7a3efe08e7d5943c
	.section	.bss,"aw",@nobits
	.globl	__hip_cuid_7a3efe08e7d5943c
__hip_cuid_7a3efe08e7d5943c:
	.byte	0                               ; 0x0
	.size	__hip_cuid_7a3efe08e7d5943c, 1

	.ident	"AMD clang version 19.0.0git (https://github.com/RadeonOpenCompute/llvm-project roc-6.4.0 25133 c7fe45cf4b819c5991fe208aaa96edf142730f1d)"
	.section	".note.GNU-stack","",@progbits
	.addrsig
	.addrsig_sym __hip_cuid_7a3efe08e7d5943c
	.amdgpu_metadata
---
amdhsa.kernels:
  - .args:
      - .actual_access:  read_only
        .address_space:  global
        .offset:         0
        .size:           8
        .value_kind:     global_buffer
      - .offset:         8
        .size:           8
        .value_kind:     by_value
      - .actual_access:  read_only
        .address_space:  global
        .offset:         16
        .size:           8
        .value_kind:     global_buffer
      - .actual_access:  read_only
        .address_space:  global
        .offset:         24
        .size:           8
        .value_kind:     global_buffer
      - .offset:         32
        .size:           8
        .value_kind:     by_value
      - .actual_access:  read_only
        .address_space:  global
        .offset:         40
        .size:           8
        .value_kind:     global_buffer
      - .actual_access:  read_only
        .address_space:  global
        .offset:         48
        .size:           8
        .value_kind:     global_buffer
      - .offset:         56
        .size:           4
        .value_kind:     by_value
      - .actual_access:  read_only
        .address_space:  global
        .offset:         64
        .size:           8
        .value_kind:     global_buffer
      - .actual_access:  read_only
        .address_space:  global
        .offset:         72
        .size:           8
        .value_kind:     global_buffer
      - .address_space:  global
        .offset:         80
        .size:           8
        .value_kind:     global_buffer
    .group_segment_fixed_size: 0
    .kernarg_segment_align: 8
    .kernarg_segment_size: 88
    .language:       OpenCL C
    .language_version:
      - 2
      - 0
    .max_flat_workgroup_size: 110
    .name:           fft_rtc_fwd_len242_factors_11_2_11_wgs_110_tpt_22_dp_ip_CI_unitstride_sbrr_R2C_dirReg
    .private_segment_fixed_size: 0
    .sgpr_count:     36
    .sgpr_spill_count: 0
    .symbol:         fft_rtc_fwd_len242_factors_11_2_11_wgs_110_tpt_22_dp_ip_CI_unitstride_sbrr_R2C_dirReg.kd
    .uniform_work_group_size: 1
    .uses_dynamic_stack: false
    .vgpr_count:     118
    .vgpr_spill_count: 0
    .wavefront_size: 64
amdhsa.target:   amdgcn-amd-amdhsa--gfx906
amdhsa.version:
  - 1
  - 2
...

	.end_amdgpu_metadata
